;; amdgpu-corpus repo=ROCm/rocFFT kind=compiled arch=gfx950 opt=O3
	.text
	.amdgcn_target "amdgcn-amd-amdhsa--gfx950"
	.amdhsa_code_object_version 6
	.protected	fft_rtc_fwd_len2592_factors_6_6_6_6_2_wgs_216_tpt_216_halfLds_dp_op_CI_CI_unitstride_sbrr_R2C_dirReg ; -- Begin function fft_rtc_fwd_len2592_factors_6_6_6_6_2_wgs_216_tpt_216_halfLds_dp_op_CI_CI_unitstride_sbrr_R2C_dirReg
	.globl	fft_rtc_fwd_len2592_factors_6_6_6_6_2_wgs_216_tpt_216_halfLds_dp_op_CI_CI_unitstride_sbrr_R2C_dirReg
	.p2align	8
	.type	fft_rtc_fwd_len2592_factors_6_6_6_6_2_wgs_216_tpt_216_halfLds_dp_op_CI_CI_unitstride_sbrr_R2C_dirReg,@function
fft_rtc_fwd_len2592_factors_6_6_6_6_2_wgs_216_tpt_216_halfLds_dp_op_CI_CI_unitstride_sbrr_R2C_dirReg: ; @fft_rtc_fwd_len2592_factors_6_6_6_6_2_wgs_216_tpt_216_halfLds_dp_op_CI_CI_unitstride_sbrr_R2C_dirReg
; %bb.0:
	s_load_dwordx4 s[4:7], s[0:1], 0x58
	s_load_dwordx4 s[8:11], s[0:1], 0x0
	;; [unrolled: 1-line block ×3, first 2 shown]
	v_mul_u32_u24_e32 v1, 0x130, v0
	v_add_u32_sdwa v6, s2, v1 dst_sel:DWORD dst_unused:UNUSED_PAD src0_sel:DWORD src1_sel:WORD_1
	v_mov_b32_e32 v4, 0
	s_waitcnt lgkmcnt(0)
	v_cmp_lt_u64_e64 s[2:3], s[10:11], 2
	v_mov_b32_e32 v7, v4
	s_and_b64 vcc, exec, s[2:3]
	v_mov_b64_e32 v[2:3], 0
	s_cbranch_vccnz .LBB0_8
; %bb.1:
	s_load_dwordx2 s[2:3], s[0:1], 0x10
	s_add_u32 s16, s14, 8
	s_addc_u32 s17, s15, 0
	s_add_u32 s18, s12, 8
	s_addc_u32 s19, s13, 0
	s_waitcnt lgkmcnt(0)
	s_add_u32 s20, s2, 8
	v_mov_b64_e32 v[2:3], 0
	s_addc_u32 s21, s3, 0
	s_mov_b64 s[22:23], 1
	v_mov_b64_e32 v[8:9], v[2:3]
.LBB0_2:                                ; =>This Inner Loop Header: Depth=1
	s_load_dwordx2 s[24:25], s[20:21], 0x0
                                        ; implicit-def: $vgpr10_vgpr11
	s_waitcnt lgkmcnt(0)
	v_or_b32_e32 v5, s25, v7
	v_cmp_ne_u64_e32 vcc, 0, v[4:5]
	s_and_saveexec_b64 s[2:3], vcc
	s_xor_b64 s[26:27], exec, s[2:3]
	s_cbranch_execz .LBB0_4
; %bb.3:                                ;   in Loop: Header=BB0_2 Depth=1
	v_cvt_f32_u32_e32 v1, s24
	v_cvt_f32_u32_e32 v5, s25
	s_sub_u32 s2, 0, s24
	s_subb_u32 s3, 0, s25
	v_fmac_f32_e32 v1, 0x4f800000, v5
	v_rcp_f32_e32 v1, v1
	s_nop 0
	v_mul_f32_e32 v1, 0x5f7ffffc, v1
	v_mul_f32_e32 v5, 0x2f800000, v1
	v_trunc_f32_e32 v5, v5
	v_fmac_f32_e32 v1, 0xcf800000, v5
	v_cvt_u32_f32_e32 v5, v5
	v_cvt_u32_f32_e32 v1, v1
	v_mul_lo_u32 v10, s2, v5
	v_mul_hi_u32 v12, s2, v1
	v_mul_lo_u32 v11, s3, v1
	v_add_u32_e32 v12, v12, v10
	v_mul_lo_u32 v14, s2, v1
	v_add_u32_e32 v15, v12, v11
	v_mul_hi_u32 v10, v1, v14
	v_mul_hi_u32 v13, v1, v15
	v_mul_lo_u32 v12, v1, v15
	v_mov_b32_e32 v11, v4
	v_lshl_add_u64 v[10:11], v[10:11], 0, v[12:13]
	v_mul_hi_u32 v13, v5, v14
	v_mul_lo_u32 v14, v5, v14
	v_add_co_u32_e32 v10, vcc, v10, v14
	v_mul_hi_u32 v12, v5, v15
	s_nop 0
	v_addc_co_u32_e32 v10, vcc, v11, v13, vcc
	v_mov_b32_e32 v11, v4
	s_nop 0
	v_addc_co_u32_e32 v13, vcc, 0, v12, vcc
	v_mul_lo_u32 v12, v5, v15
	v_lshl_add_u64 v[10:11], v[10:11], 0, v[12:13]
	v_add_co_u32_e32 v1, vcc, v1, v10
	v_mul_lo_u32 v12, s2, v1
	s_nop 0
	v_addc_co_u32_e32 v5, vcc, v5, v11, vcc
	v_mul_lo_u32 v10, s2, v5
	v_mul_hi_u32 v11, s2, v1
	v_add_u32_e32 v10, v11, v10
	v_mul_lo_u32 v11, s3, v1
	v_add_u32_e32 v14, v10, v11
	v_mul_hi_u32 v16, v5, v12
	v_mul_lo_u32 v17, v5, v12
	v_mul_hi_u32 v11, v1, v14
	v_mul_lo_u32 v10, v1, v14
	v_mul_hi_u32 v12, v1, v12
	v_mov_b32_e32 v13, v4
	v_lshl_add_u64 v[10:11], v[12:13], 0, v[10:11]
	v_add_co_u32_e32 v10, vcc, v10, v17
	v_mul_hi_u32 v15, v5, v14
	s_nop 0
	v_addc_co_u32_e32 v10, vcc, v11, v16, vcc
	v_mul_lo_u32 v12, v5, v14
	s_nop 0
	v_addc_co_u32_e32 v13, vcc, 0, v15, vcc
	v_mov_b32_e32 v11, v4
	v_lshl_add_u64 v[10:11], v[10:11], 0, v[12:13]
	v_add_co_u32_e32 v1, vcc, v1, v10
	v_mul_hi_u32 v12, v6, v1
	s_nop 0
	v_addc_co_u32_e32 v5, vcc, v5, v11, vcc
	v_mad_u64_u32 v[10:11], s[2:3], v6, v5, 0
	v_mov_b32_e32 v13, v4
	v_lshl_add_u64 v[10:11], v[12:13], 0, v[10:11]
	v_mad_u64_u32 v[14:15], s[2:3], v7, v1, 0
	v_add_co_u32_e32 v1, vcc, v10, v14
	v_mad_u64_u32 v[12:13], s[2:3], v7, v5, 0
	s_nop 0
	v_addc_co_u32_e32 v10, vcc, v11, v15, vcc
	v_mov_b32_e32 v11, v4
	s_nop 0
	v_addc_co_u32_e32 v13, vcc, 0, v13, vcc
	v_lshl_add_u64 v[10:11], v[10:11], 0, v[12:13]
	v_mul_lo_u32 v1, s25, v10
	v_mul_lo_u32 v5, s24, v11
	v_mad_u64_u32 v[12:13], s[2:3], s24, v10, 0
	v_add3_u32 v1, v13, v5, v1
	v_sub_u32_e32 v5, v7, v1
	v_mov_b32_e32 v13, s25
	v_sub_co_u32_e32 v16, vcc, v6, v12
	v_lshl_add_u64 v[14:15], v[10:11], 0, 1
	s_nop 0
	v_subb_co_u32_e64 v5, s[2:3], v5, v13, vcc
	v_subrev_co_u32_e64 v12, s[2:3], s24, v16
	v_subb_co_u32_e32 v1, vcc, v7, v1, vcc
	s_nop 0
	v_subbrev_co_u32_e64 v5, s[2:3], 0, v5, s[2:3]
	v_cmp_le_u32_e64 s[2:3], s25, v5
	v_cmp_le_u32_e32 vcc, s25, v1
	s_nop 0
	v_cndmask_b32_e64 v13, 0, -1, s[2:3]
	v_cmp_le_u32_e64 s[2:3], s24, v12
	s_nop 1
	v_cndmask_b32_e64 v12, 0, -1, s[2:3]
	v_cmp_eq_u32_e64 s[2:3], s25, v5
	s_nop 1
	v_cndmask_b32_e64 v5, v13, v12, s[2:3]
	v_lshl_add_u64 v[12:13], v[10:11], 0, 2
	v_cmp_ne_u32_e64 s[2:3], 0, v5
	s_nop 1
	v_cndmask_b32_e64 v5, v15, v13, s[2:3]
	v_cndmask_b32_e64 v13, 0, -1, vcc
	v_cmp_le_u32_e32 vcc, s24, v16
	s_nop 1
	v_cndmask_b32_e64 v15, 0, -1, vcc
	v_cmp_eq_u32_e32 vcc, s25, v1
	s_nop 1
	v_cndmask_b32_e32 v1, v13, v15, vcc
	v_cmp_ne_u32_e32 vcc, 0, v1
	v_cndmask_b32_e64 v1, v14, v12, s[2:3]
	s_nop 0
	v_cndmask_b32_e32 v11, v11, v5, vcc
	v_cndmask_b32_e32 v10, v10, v1, vcc
.LBB0_4:                                ;   in Loop: Header=BB0_2 Depth=1
	s_andn2_saveexec_b64 s[2:3], s[26:27]
	s_cbranch_execz .LBB0_6
; %bb.5:                                ;   in Loop: Header=BB0_2 Depth=1
	v_cvt_f32_u32_e32 v1, s24
	s_sub_i32 s26, 0, s24
	v_rcp_iflag_f32_e32 v1, v1
	s_nop 0
	v_mul_f32_e32 v1, 0x4f7ffffe, v1
	v_cvt_u32_f32_e32 v1, v1
	v_mul_lo_u32 v5, s26, v1
	v_mul_hi_u32 v5, v1, v5
	v_add_u32_e32 v1, v1, v5
	v_mul_hi_u32 v1, v6, v1
	v_mul_lo_u32 v5, v1, s24
	v_sub_u32_e32 v5, v6, v5
	v_add_u32_e32 v10, 1, v1
	v_subrev_u32_e32 v11, s24, v5
	v_cmp_le_u32_e32 vcc, s24, v5
	s_nop 1
	v_cndmask_b32_e32 v5, v5, v11, vcc
	v_cndmask_b32_e32 v1, v1, v10, vcc
	v_add_u32_e32 v10, 1, v1
	v_cmp_le_u32_e32 vcc, s24, v5
	v_mov_b32_e32 v11, v4
	s_nop 0
	v_cndmask_b32_e32 v10, v1, v10, vcc
.LBB0_6:                                ;   in Loop: Header=BB0_2 Depth=1
	s_or_b64 exec, exec, s[2:3]
	v_mad_u64_u32 v[12:13], s[2:3], v10, s24, 0
	s_load_dwordx2 s[2:3], s[18:19], 0x0
	v_mul_lo_u32 v1, v11, s24
	v_mul_lo_u32 v5, v10, s25
	s_load_dwordx2 s[24:25], s[16:17], 0x0
	s_add_u32 s22, s22, 1
	v_add3_u32 v1, v13, v5, v1
	v_sub_co_u32_e32 v5, vcc, v6, v12
	s_addc_u32 s23, s23, 0
	s_nop 0
	v_subb_co_u32_e32 v1, vcc, v7, v1, vcc
	s_add_u32 s16, s16, 8
	s_waitcnt lgkmcnt(0)
	v_mul_lo_u32 v6, s2, v1
	v_mul_lo_u32 v7, s3, v5
	v_mad_u64_u32 v[2:3], s[2:3], s2, v5, v[2:3]
	s_addc_u32 s17, s17, 0
	v_add3_u32 v3, v7, v3, v6
	v_mul_lo_u32 v1, s24, v1
	v_mul_lo_u32 v6, s25, v5
	v_mad_u64_u32 v[8:9], s[2:3], s24, v5, v[8:9]
	s_add_u32 s18, s18, 8
	v_add3_u32 v9, v6, v9, v1
	s_addc_u32 s19, s19, 0
	v_mov_b64_e32 v[6:7], s[10:11]
	s_add_u32 s20, s20, 8
	v_cmp_ge_u64_e32 vcc, s[22:23], v[6:7]
	s_addc_u32 s21, s21, 0
	s_cbranch_vccnz .LBB0_9
; %bb.7:                                ;   in Loop: Header=BB0_2 Depth=1
	v_mov_b64_e32 v[6:7], v[10:11]
	s_branch .LBB0_2
.LBB0_8:
	v_mov_b64_e32 v[8:9], v[2:3]
	v_mov_b64_e32 v[10:11], v[6:7]
.LBB0_9:
	s_load_dwordx2 s[18:19], s[0:1], 0x28
	s_lshl_b64 s[16:17], s[10:11], 3
	s_add_u32 s2, s14, s16
	s_addc_u32 s3, s15, s17
                                        ; implicit-def: $vgpr12
                                        ; implicit-def: $vgpr22
                                        ; implicit-def: $vgpr20
                                        ; implicit-def: $vgpr16
                                        ; implicit-def: $vgpr18
                                        ; implicit-def: $vgpr14
	s_waitcnt lgkmcnt(0)
	v_cmp_gt_u64_e64 s[0:1], s[18:19], v[10:11]
	v_cmp_le_u64_e32 vcc, s[18:19], v[10:11]
	s_and_saveexec_b64 s[10:11], vcc
	s_xor_b64 s[10:11], exec, s[10:11]
	s_cbranch_execz .LBB0_11
; %bb.10:
	s_mov_b32 s14, 0x12f684c
	v_mul_hi_u32 v1, v0, s14
	v_mul_u32_u24_e32 v1, 0xd8, v1
	v_sub_u32_e32 v12, v0, v1
	v_mov_b32_e32 v13, 0
	v_add_u32_e32 v22, 0xd8, v12
	v_add_u32_e32 v20, 0x1b0, v12
	;; [unrolled: 1-line block ×5, first 2 shown]
	v_mov_b32_e32 v23, v13
	v_mov_b32_e32 v21, v13
	;; [unrolled: 1-line block ×5, first 2 shown]
                                        ; implicit-def: $vgpr0
                                        ; implicit-def: $vgpr2_vgpr3
.LBB0_11:
	s_andn2_saveexec_b64 s[10:11], s[10:11]
	s_cbranch_execz .LBB0_13
; %bb.12:
	s_add_u32 s12, s12, s16
	s_addc_u32 s13, s13, s17
	s_load_dwordx2 s[12:13], s[12:13], 0x0
	s_mov_b32 s14, 0x12f684c
	v_mov_b32_e32 v13, 0
	v_mov_b32_e32 v65, v13
	;; [unrolled: 1-line block ×3, first 2 shown]
	s_waitcnt lgkmcnt(0)
	v_mul_lo_u32 v1, s13, v10
	v_mul_lo_u32 v6, s12, v11
	v_mad_u64_u32 v[4:5], s[12:13], s12, v10, 0
	v_add3_u32 v5, v5, v6, v1
	v_mul_hi_u32 v1, v0, s14
	v_mul_u32_u24_e32 v1, 0xd8, v1
	v_sub_u32_e32 v12, v0, v1
	v_lshl_add_u64 v[0:1], v[4:5], 4, s[4:5]
	v_lshl_add_u64 v[0:1], v[2:3], 4, v[0:1]
	v_lshlrev_b32_e32 v64, 4, v12
	v_lshl_add_u64 v[14:15], v[0:1], 0, v[64:65]
	s_movk_i32 s4, 0x1000
	v_add_co_u32_e32 v16, vcc, s4, v14
	s_movk_i32 s4, 0x2000
	s_nop 0
	v_addc_co_u32_e32 v17, vcc, 0, v15, vcc
	v_add_co_u32_e32 v18, vcc, s4, v14
	s_movk_i32 s4, 0x3000
	s_nop 0
	v_addc_co_u32_e32 v19, vcc, 0, v15, vcc
	global_load_dwordx4 v[0:3], v[14:15], off
	global_load_dwordx4 v[4:7], v[14:15], off offset:3456
	global_load_dwordx4 v[24:27], v[16:17], off offset:2816
	;; [unrolled: 1-line block ×3, first 2 shown]
	v_add_co_u32_e32 v16, vcc, s4, v14
	s_movk_i32 s4, 0x4000
	s_nop 0
	v_addc_co_u32_e32 v17, vcc, 0, v15, vcc
	v_add_co_u32_e32 v18, vcc, s4, v14
	s_movk_i32 s4, 0x5000
	s_nop 0
	v_addc_co_u32_e32 v19, vcc, 0, v15, vcc
	global_load_dwordx4 v[32:35], v[16:17], off offset:1536
	global_load_dwordx4 v[36:39], v[18:19], off offset:896
	v_add_co_u32_e32 v16, vcc, s4, v14
	s_movk_i32 s4, 0x6000
	s_nop 0
	v_addc_co_u32_e32 v17, vcc, 0, v15, vcc
	global_load_dwordx4 v[40:43], v[16:17], off offset:256
	global_load_dwordx4 v[44:47], v[16:17], off offset:3712
	v_add_co_u32_e32 v16, vcc, s4, v14
	s_movk_i32 s4, 0x7000
	s_nop 0
	v_addc_co_u32_e32 v17, vcc, 0, v15, vcc
	v_add_co_u32_e32 v18, vcc, s4, v14
	v_mov_b32_e32 v21, v13
	s_nop 0
	v_addc_co_u32_e32 v19, vcc, 0, v15, vcc
	global_load_dwordx4 v[48:51], v[16:17], off offset:3072
	global_load_dwordx4 v[52:55], v[18:19], off offset:2432
	v_add_co_u32_e32 v16, vcc, 0x8000, v14
	v_mov_b32_e32 v19, v13
	s_nop 0
	v_addc_co_u32_e32 v17, vcc, 0, v15, vcc
	v_add_co_u32_e32 v14, vcc, 0x9000, v14
	v_add_u32_e32 v22, 0xd8, v12
	s_nop 0
	v_addc_co_u32_e32 v15, vcc, 0, v15, vcc
	global_load_dwordx4 v[56:59], v[16:17], off offset:1792
	global_load_dwordx4 v[60:63], v[14:15], off offset:1152
	v_mov_b32_e32 v17, v13
	v_mov_b32_e32 v15, v13
	v_add_u32_e32 v20, 0x1b0, v12
	v_add_u32_e32 v18, 0x288, v12
	;; [unrolled: 1-line block ×5, first 2 shown]
	s_waitcnt vmcnt(11)
	ds_write_b128 v64, v[0:3]
	s_waitcnt vmcnt(10)
	ds_write_b128 v64, v[4:7] offset:3456
	s_waitcnt vmcnt(9)
	ds_write_b128 v64, v[24:27] offset:6912
	;; [unrolled: 2-line block ×11, first 2 shown]
.LBB0_13:
	s_or_b64 exec, exec, s[10:11]
	v_lshlrev_b32_e32 v24, 4, v12
	v_add_u32_e32 v28, 0, v24
	s_load_dwordx2 s[2:3], s[2:3], 0x0
	s_waitcnt lgkmcnt(0)
	s_barrier
	ds_read_b128 v[4:7], v28
	ds_read_b128 v[0:3], v28 offset:3456
	ds_read_b128 v[30:33], v28 offset:6912
	;; [unrolled: 1-line block ×7, first 2 shown]
	s_mov_b32 s4, 0xe8584caa
	s_waitcnt lgkmcnt(3)
	v_add_f64 v[26:27], v[30:31], v[38:39]
	v_add_f64 v[64:65], v[32:33], v[40:41]
	s_waitcnt lgkmcnt(1)
	v_add_f64 v[54:55], v[38:39], v[46:47]
	v_fmac_f64_e32 v[30:31], -0.5, v[54:55]
	v_add_f64 v[54:55], v[40:41], -v[48:49]
	v_add_f64 v[40:41], v[40:41], v[48:49]
	s_mov_b32 s5, 0x3febb67a
	s_mov_b32 s11, 0xbfebb67a
	;; [unrolled: 1-line block ×3, first 2 shown]
	v_fmac_f64_e32 v[32:33], -0.5, v[40:41]
	v_add_f64 v[38:39], v[38:39], -v[46:47]
	v_fma_f64 v[62:63], s[4:5], v[54:55], v[30:31]
	v_fmac_f64_e32 v[30:31], s[10:11], v[54:55]
	v_fma_f64 v[66:67], s[10:11], v[38:39], v[32:33]
	v_fmac_f64_e32 v[32:33], s[4:5], v[38:39]
	ds_read_b128 v[38:41], v28 offset:13824
	ds_read_b128 v[54:57], v28 offset:27648
	;; [unrolled: 1-line block ×3, first 2 shown]
	v_mul_f64 v[68:69], v[30:31], -0.5
	v_mul_f64 v[70:71], v[32:33], -0.5
	v_fmac_f64_e32 v[68:69], s[4:5], v[32:33]
	v_fmac_f64_e32 v[70:71], s[10:11], v[30:31]
	ds_read_b128 v[30:33], v28 offset:17280
	s_waitcnt lgkmcnt(2)
	v_add_f64 v[74:75], v[38:39], v[54:55]
	v_add_f64 v[72:73], v[4:5], v[38:39]
	v_fmac_f64_e32 v[4:5], -0.5, v[74:75]
	v_add_f64 v[74:75], v[40:41], -v[56:57]
	v_fma_f64 v[76:77], s[4:5], v[74:75], v[4:5]
	v_fmac_f64_e32 v[4:5], s[10:11], v[74:75]
	v_add_f64 v[74:75], v[6:7], v[40:41]
	v_add_f64 v[40:41], v[40:41], v[56:57]
	v_fmac_f64_e32 v[6:7], -0.5, v[40:41]
	v_add_f64 v[38:39], v[38:39], -v[54:55]
	v_fma_f64 v[78:79], s[10:11], v[38:39], v[6:7]
	v_fmac_f64_e32 v[6:7], s[4:5], v[38:39]
	v_add_f64 v[40:41], v[6:7], v[70:71]
	v_add_f64 v[6:7], v[6:7], -v[70:71]
	v_add_f64 v[70:71], v[42:43], v[50:51]
	v_add_f64 v[38:39], v[4:5], v[68:69]
	v_add_f64 v[4:5], v[4:5], -v[68:69]
	v_add_f64 v[68:69], v[34:35], v[42:43]
	v_fmac_f64_e32 v[34:35], -0.5, v[70:71]
	v_add_f64 v[70:71], v[44:45], -v[52:53]
	v_fma_f64 v[80:81], s[4:5], v[70:71], v[34:35]
	v_fmac_f64_e32 v[34:35], s[10:11], v[70:71]
	v_add_f64 v[70:71], v[36:37], v[44:45]
	v_add_f64 v[44:45], v[44:45], v[52:53]
	v_fmac_f64_e32 v[36:37], -0.5, v[44:45]
	v_add_f64 v[42:43], v[42:43], -v[50:51]
	v_fma_f64 v[82:83], s[10:11], v[42:43], v[36:37]
	v_fmac_f64_e32 v[36:37], s[4:5], v[42:43]
	v_mul_f64 v[42:43], v[34:35], -0.5
	v_fmac_f64_e32 v[42:43], s[4:5], v[36:37]
	v_mul_f64 v[36:37], v[36:37], -0.5
	v_fmac_f64_e32 v[36:37], s[10:11], v[34:35]
	s_waitcnt lgkmcnt(0)
	v_add_f64 v[34:35], v[30:31], v[58:59]
	v_add_f64 v[84:85], v[0:1], v[30:31]
	v_fmac_f64_e32 v[0:1], -0.5, v[34:35]
	v_add_f64 v[34:35], v[32:33], -v[60:61]
	v_add_f64 v[88:89], v[2:3], v[32:33]
	v_add_f64 v[32:33], v[32:33], v[60:61]
	v_fma_f64 v[86:87], s[4:5], v[34:35], v[0:1]
	v_fmac_f64_e32 v[0:1], s[10:11], v[34:35]
	v_fmac_f64_e32 v[2:3], -0.5, v[32:33]
	v_add_f64 v[30:31], v[30:31], -v[58:59]
	v_fma_f64 v[90:91], s[10:11], v[30:31], v[2:3]
	v_fmac_f64_e32 v[2:3], s[4:5], v[30:31]
	v_add_f64 v[30:31], v[0:1], v[42:43]
	v_add_f64 v[0:1], v[0:1], -v[42:43]
	v_add_f64 v[42:43], v[72:73], v[54:55]
	v_add_f64 v[26:27], v[26:27], v[46:47]
	;; [unrolled: 1-line block ×3, first 2 shown]
	v_add_f64 v[42:43], v[42:43], -v[26:27]
	v_mul_f64 v[26:27], v[66:67], s[4:5]
	v_add_f64 v[44:45], v[74:75], v[56:57]
	v_add_f64 v[46:47], v[64:65], v[48:49]
	v_fmac_f64_e32 v[26:27], 0.5, v[62:63]
	v_mul_f64 v[56:57], v[62:63], s[10:11]
	s_movk_i32 s12, 0x50
	v_add_f64 v[32:33], v[2:3], v[36:37]
	v_add_f64 v[2:3], v[2:3], -v[36:37]
	v_add_f64 v[36:37], v[44:45], v[46:47]
	v_add_f64 v[44:45], v[44:45], -v[46:47]
	v_fmac_f64_e32 v[56:57], 0.5, v[66:67]
	v_add_f64 v[46:47], v[76:77], v[26:27]
	v_add_f64 v[54:55], v[76:77], -v[26:27]
	v_add_f64 v[26:27], v[84:85], v[58:59]
	v_add_f64 v[58:59], v[68:69], v[50:51]
	v_mad_u32_u24 v25, v12, s12, v28
	v_add_f64 v[48:49], v[78:79], v[56:57]
	v_add_f64 v[56:57], v[78:79], -v[56:57]
	v_add_f64 v[60:61], v[88:89], v[60:61]
	v_add_f64 v[62:63], v[70:71], v[52:53]
	v_add_f64 v[50:51], v[26:27], v[58:59]
	v_add_f64 v[58:59], v[26:27], -v[58:59]
	v_mul_f64 v[26:27], v[82:83], s[4:5]
	v_mul_f64 v[68:69], v[80:81], s[10:11]
	s_barrier
	ds_write_b128 v25, v[34:37]
	ds_write_b128 v25, v[46:49] offset:16
	ds_write_b128 v25, v[38:41] offset:32
	;; [unrolled: 1-line block ×5, first 2 shown]
	v_mul_i32_i24_e32 v4, 6, v22
	v_add_f64 v[52:53], v[60:61], v[62:63]
	v_fmac_f64_e32 v[26:27], 0.5, v[80:81]
	v_fmac_f64_e32 v[68:69], 0.5, v[82:83]
	v_lshl_add_u32 v29, v4, 4, 0
	s_movk_i32 s12, 0xab
	v_add_f64 v[60:61], v[60:61], -v[62:63]
	v_add_f64 v[62:63], v[86:87], v[26:27]
	v_add_f64 v[64:65], v[90:91], v[68:69]
	v_add_f64 v[66:67], v[86:87], -v[26:27]
	v_add_f64 v[68:69], v[90:91], -v[68:69]
	ds_write_b128 v29, v[50:53]
	ds_write_b128 v29, v[62:65] offset:16
	ds_write_b128 v29, v[30:33] offset:32
	;; [unrolled: 1-line block ×5, first 2 shown]
	v_mul_lo_u16_sdwa v0, v12, s12 dst_sel:DWORD dst_unused:UNUSED_PAD src0_sel:BYTE_0 src1_sel:DWORD
	v_lshrrev_b16_e32 v25, 10, v0
	v_mul_lo_u16_e32 v0, 6, v25
	v_sub_u16_e32 v100, v12, v0
	v_mov_b32_e32 v5, 5
	v_mul_u32_u24_sdwa v0, v100, v5 dst_sel:DWORD dst_unused:UNUSED_PAD src0_sel:BYTE_0 src1_sel:DWORD
	v_lshlrev_b32_e32 v0, 4, v0
	s_waitcnt lgkmcnt(0)
	s_barrier
	global_load_dwordx4 v[32:35], v0, s[8:9]
	global_load_dwordx4 v[36:39], v0, s[8:9] offset:16
	global_load_dwordx4 v[40:43], v0, s[8:9] offset:32
	;; [unrolled: 1-line block ×3, first 2 shown]
	s_mov_b32 s12, 0xaaab
	v_mul_u32_u24_sdwa v1, v22, s12 dst_sel:DWORD dst_unused:UNUSED_PAD src0_sel:WORD_0 src1_sel:DWORD
	global_load_dwordx4 v[48:51], v0, s[8:9] offset:64
	v_lshrrev_b32_e32 v101, 18, v1
	v_mul_lo_u16_e32 v0, 6, v101
	v_sub_u16_e32 v102, v22, v0
	v_mul_u32_u24_e32 v0, 5, v102
	v_lshlrev_b32_e32 v0, 4, v0
	global_load_dwordx4 v[52:55], v0, s[8:9]
	global_load_dwordx4 v[56:59], v0, s[8:9] offset:16
	global_load_dwordx4 v[60:63], v0, s[8:9] offset:32
	;; [unrolled: 1-line block ×4, first 2 shown]
	v_lshl_add_u32 v31, v20, 4, 0
	ds_read_b128 v[72:75], v31
	v_lshl_add_u32 v30, v16, 4, 0
	s_movk_i32 s12, 0xffb0
	v_mad_i32_i24 v4, v22, s12, v29
	ds_read_b128 v[76:79], v30
	ds_read_b128 v[0:3], v4
	ds_read_b128 v[80:83], v28 offset:31104
	s_mov_b32 s12, 0xe38f
	s_waitcnt vmcnt(9) lgkmcnt(3)
	v_mul_f64 v[6:7], v[74:75], v[34:35]
	v_mul_f64 v[26:27], v[72:73], v[34:35]
	v_fma_f64 v[6:7], v[72:73], v[32:33], -v[6:7]
	v_fmac_f64_e32 v[26:27], v[74:75], v[32:33]
	s_waitcnt vmcnt(8) lgkmcnt(2)
	v_mul_f64 v[72:73], v[78:79], v[38:39]
	ds_read_b128 v[32:35], v28 offset:20736
	v_fma_f64 v[84:85], v[76:77], v[36:37], -v[72:73]
	ds_read_b128 v[72:75], v28 offset:27648
	v_mul_f64 v[76:77], v[76:77], v[38:39]
	v_fmac_f64_e32 v[76:77], v[78:79], v[36:37]
	ds_read_b128 v[36:39], v28 offset:17280
	s_waitcnt vmcnt(7) lgkmcnt(2)
	v_mul_f64 v[78:79], v[34:35], v[42:43]
	v_mul_f64 v[86:87], v[32:33], v[42:43]
	v_fma_f64 v[78:79], v[32:33], v[40:41], -v[78:79]
	v_fmac_f64_e32 v[86:87], v[34:35], v[40:41]
	ds_read_b128 v[32:35], v28 offset:24192
	s_waitcnt vmcnt(6) lgkmcnt(2)
	v_mul_f64 v[88:89], v[74:75], v[46:47]
	ds_read_b128 v[40:43], v28 offset:34560
	v_mul_f64 v[90:91], v[72:73], v[46:47]
	v_fma_f64 v[88:89], v[72:73], v[44:45], -v[88:89]
	v_fmac_f64_e32 v[90:91], v[74:75], v[44:45]
	ds_read_b128 v[44:47], v28 offset:38016
	ds_read_b128 v[72:75], v28 offset:10368
	s_waitcnt vmcnt(5) lgkmcnt(2)
	v_mul_f64 v[92:93], v[42:43], v[50:51]
	v_mul_f64 v[50:51], v[40:41], v[50:51]
	v_fma_f64 v[92:93], v[40:41], v[48:49], -v[92:93]
	v_fmac_f64_e32 v[50:51], v[42:43], v[48:49]
	ds_read_b128 v[40:43], v28
	s_waitcnt vmcnt(4) lgkmcnt(1)
	v_mul_f64 v[48:49], v[74:75], v[54:55]
	v_mul_f64 v[54:55], v[72:73], v[54:55]
	v_fma_f64 v[48:49], v[72:73], v[52:53], -v[48:49]
	v_fmac_f64_e32 v[54:55], v[74:75], v[52:53]
	s_waitcnt vmcnt(3)
	v_mul_f64 v[52:53], v[38:39], v[58:59]
	v_fma_f64 v[52:53], v[36:37], v[56:57], -v[52:53]
	v_mul_f64 v[58:59], v[36:37], v[58:59]
	s_waitcnt vmcnt(2)
	v_mul_f64 v[36:37], v[34:35], v[62:63]
	v_fmac_f64_e32 v[58:59], v[38:39], v[56:57]
	v_fma_f64 v[56:57], v[32:33], v[60:61], -v[36:37]
	v_mul_f64 v[62:63], v[32:33], v[62:63]
	s_waitcnt vmcnt(1)
	v_mul_f64 v[32:33], v[82:83], v[66:67]
	v_fmac_f64_e32 v[62:63], v[34:35], v[60:61]
	v_fma_f64 v[60:61], v[80:81], v[64:65], -v[32:33]
	v_mul_f64 v[66:67], v[80:81], v[66:67]
	s_waitcnt vmcnt(0)
	v_mul_f64 v[32:33], v[46:47], v[70:71]
	v_fmac_f64_e32 v[66:67], v[82:83], v[64:65]
	v_fma_f64 v[64:65], v[44:45], v[68:69], -v[32:33]
	v_add_f64 v[32:33], v[84:85], v[88:89]
	v_mul_f64 v[70:71], v[44:45], v[70:71]
	s_waitcnt lgkmcnt(0)
	v_add_f64 v[44:45], v[40:41], v[84:85]
	v_fmac_f64_e32 v[40:41], -0.5, v[32:33]
	v_add_f64 v[32:33], v[76:77], -v[90:91]
	v_fmac_f64_e32 v[70:71], v[46:47], v[68:69]
	v_fma_f64 v[68:69], s[4:5], v[32:33], v[40:41]
	v_fmac_f64_e32 v[40:41], s[10:11], v[32:33]
	v_add_f64 v[32:33], v[76:77], v[90:91]
	v_add_f64 v[46:47], v[42:43], v[76:77]
	v_fmac_f64_e32 v[42:43], -0.5, v[32:33]
	v_add_f64 v[32:33], v[84:85], -v[88:89]
	v_fma_f64 v[72:73], s[10:11], v[32:33], v[42:43]
	v_fmac_f64_e32 v[42:43], s[4:5], v[32:33]
	v_add_f64 v[32:33], v[78:79], v[92:93]
	v_add_f64 v[74:75], v[6:7], v[78:79]
	v_fmac_f64_e32 v[6:7], -0.5, v[32:33]
	v_add_f64 v[32:33], v[86:87], -v[50:51]
	;; [unrolled: 6-line block ×3, first 2 shown]
	v_fma_f64 v[78:79], s[10:11], v[32:33], v[26:27]
	v_fmac_f64_e32 v[26:27], s[4:5], v[32:33]
	v_mul_f64 v[36:37], v[6:7], -0.5
	v_fmac_f64_e32 v[36:37], s[4:5], v[26:27]
	v_mul_f64 v[26:27], v[26:27], -0.5
	v_fmac_f64_e32 v[26:27], s[10:11], v[6:7]
	v_add_f64 v[34:35], v[42:43], v[26:27]
	v_add_f64 v[38:39], v[42:43], -v[26:27]
	v_add_f64 v[26:27], v[52:53], v[60:61]
	v_add_f64 v[32:33], v[40:41], v[36:37]
	v_add_f64 v[36:37], v[40:41], -v[36:37]
	v_add_f64 v[6:7], v[0:1], v[52:53]
	v_fmac_f64_e32 v[0:1], -0.5, v[26:27]
	v_add_f64 v[26:27], v[58:59], -v[66:67]
	v_add_f64 v[40:41], v[58:59], v[66:67]
	v_fma_f64 v[82:83], s[4:5], v[26:27], v[0:1]
	v_fmac_f64_e32 v[0:1], s[10:11], v[26:27]
	v_add_f64 v[26:27], v[2:3], v[58:59]
	v_fmac_f64_e32 v[2:3], -0.5, v[40:41]
	v_add_f64 v[40:41], v[52:53], -v[60:61]
	v_fma_f64 v[84:85], s[10:11], v[40:41], v[2:3]
	v_fmac_f64_e32 v[2:3], s[4:5], v[40:41]
	v_add_f64 v[40:41], v[56:57], v[64:65]
	v_add_f64 v[86:87], v[48:49], v[56:57]
	v_fmac_f64_e32 v[48:49], -0.5, v[40:41]
	v_add_f64 v[40:41], v[62:63], -v[70:71]
	v_fma_f64 v[94:95], s[4:5], v[40:41], v[48:49]
	v_fmac_f64_e32 v[48:49], s[10:11], v[40:41]
	v_add_f64 v[40:41], v[62:63], v[70:71]
	v_add_f64 v[96:97], v[54:55], v[62:63]
	v_fmac_f64_e32 v[54:55], -0.5, v[40:41]
	v_add_f64 v[40:41], v[56:57], -v[64:65]
	v_fma_f64 v[98:99], s[10:11], v[40:41], v[54:55]
	v_fmac_f64_e32 v[54:55], s[4:5], v[40:41]
	v_mul_f64 v[52:53], v[48:49], -0.5
	v_fmac_f64_e32 v[52:53], s[4:5], v[54:55]
	v_mul_f64 v[54:55], v[54:55], -0.5
	v_add_f64 v[6:7], v[6:7], v[60:61]
	v_add_f64 v[64:65], v[86:87], v[64:65]
	v_fmac_f64_e32 v[54:55], s[10:11], v[48:49]
	v_mul_f64 v[56:57], v[78:79], s[4:5]
	v_mul_f64 v[58:59], v[76:77], s[10:11]
	v_add_f64 v[60:61], v[6:7], v[64:65]
	v_add_f64 v[64:65], v[6:7], -v[64:65]
	v_mul_f64 v[6:7], v[98:99], s[4:5]
	v_add_f64 v[40:41], v[0:1], v[52:53]
	v_add_f64 v[42:43], v[2:3], v[54:55]
	v_add_f64 v[0:1], v[0:1], -v[52:53]
	v_add_f64 v[2:3], v[2:3], -v[54:55]
	v_add_f64 v[48:49], v[44:45], v[88:89]
	v_add_f64 v[52:53], v[46:47], v[90:91]
	;; [unrolled: 1-line block ×4, first 2 shown]
	v_fmac_f64_e32 v[56:57], 0.5, v[76:77]
	v_fmac_f64_e32 v[58:59], 0.5, v[78:79]
	;; [unrolled: 1-line block ×3, first 2 shown]
	v_add_f64 v[44:45], v[48:49], v[54:55]
	v_add_f64 v[46:47], v[52:53], v[50:51]
	v_add_f64 v[48:49], v[48:49], -v[54:55]
	v_add_f64 v[50:51], v[52:53], -v[50:51]
	v_add_f64 v[52:53], v[68:69], v[56:57]
	v_add_f64 v[54:55], v[72:73], v[58:59]
	v_add_f64 v[56:57], v[68:69], -v[56:57]
	v_add_f64 v[58:59], v[72:73], -v[58:59]
	v_add_f64 v[68:69], v[82:83], v[6:7]
	v_add_f64 v[72:73], v[82:83], -v[6:7]
	v_mov_b32_e32 v6, 4
	v_mul_u32_u24_e32 v7, 0x240, v25
	v_lshlrev_b32_sdwa v25, v6, v100 dst_sel:DWORD dst_unused:UNUSED_PAD src0_sel:DWORD src1_sel:BYTE_0
	v_add_f64 v[26:27], v[26:27], v[66:67]
	v_add_f64 v[66:67], v[96:97], v[70:71]
	v_add3_u32 v7, 0, v7, v25
	v_add_f64 v[62:63], v[26:27], v[66:67]
	v_add_f64 v[66:67], v[26:27], -v[66:67]
	v_mul_f64 v[26:27], v[94:95], s[10:11]
	s_barrier
	ds_write_b128 v7, v[44:47]
	ds_write_b128 v7, v[52:55] offset:96
	ds_write_b128 v7, v[32:35] offset:192
	;; [unrolled: 1-line block ×5, first 2 shown]
	v_mul_u32_u24_e32 v7, 0x240, v101
	v_lshlrev_b32_e32 v25, 4, v102
	v_fmac_f64_e32 v[26:27], 0.5, v[98:99]
	v_add3_u32 v7, 0, v7, v25
	v_add_f64 v[70:71], v[84:85], v[26:27]
	v_add_f64 v[74:75], v[84:85], -v[26:27]
	ds_write_b128 v7, v[60:63]
	ds_write_b128 v7, v[68:71] offset:96
	ds_write_b128 v7, v[40:43] offset:192
	;; [unrolled: 1-line block ×5, first 2 shown]
	v_mov_b32_e32 v0, 57
	v_mul_lo_u16_sdwa v0, v12, v0 dst_sel:DWORD dst_unused:UNUSED_PAD src0_sel:BYTE_0 src1_sel:DWORD
	v_lshrrev_b16_e32 v7, 11, v0
	v_mul_lo_u16_e32 v0, 36, v7
	v_sub_u16_e32 v25, v12, v0
	v_mul_u32_u24_sdwa v0, v25, v5 dst_sel:DWORD dst_unused:UNUSED_PAD src0_sel:BYTE_0 src1_sel:DWORD
	v_lshlrev_b32_e32 v0, 4, v0
	s_waitcnt lgkmcnt(0)
	s_barrier
	global_load_dwordx4 v[32:35], v0, s[8:9] offset:480
	global_load_dwordx4 v[36:39], v0, s[8:9] offset:496
	;; [unrolled: 1-line block ×4, first 2 shown]
	v_mul_u32_u24_sdwa v1, v22, s12 dst_sel:DWORD dst_unused:UNUSED_PAD src0_sel:WORD_0 src1_sel:DWORD
	global_load_dwordx4 v[48:51], v0, s[8:9] offset:544
	v_lshrrev_b32_e32 v5, 21, v1
	v_mul_lo_u16_e32 v0, 36, v5
	v_sub_u16_e32 v102, v22, v0
	v_mul_u32_u24_e32 v0, 5, v102
	v_lshlrev_b32_e32 v0, 4, v0
	global_load_dwordx4 v[52:55], v0, s[8:9] offset:480
	global_load_dwordx4 v[56:59], v0, s[8:9] offset:496
	;; [unrolled: 1-line block ×5, first 2 shown]
	ds_read_b128 v[72:75], v31
	ds_read_b128 v[76:79], v30
	;; [unrolled: 1-line block ×3, first 2 shown]
	ds_read_b128 v[80:83], v28 offset:31104
	v_lshlrev_b32_sdwa v6, v6, v25 dst_sel:DWORD dst_unused:UNUSED_PAD src0_sel:DWORD src1_sel:BYTE_0
	v_mul_u32_u24_e32 v7, 0xd80, v7
	v_add3_u32 v6, 0, v7, v6
	v_mul_u32_u24_e32 v5, 0xd80, v5
	s_waitcnt vmcnt(9) lgkmcnt(3)
	v_mul_f64 v[26:27], v[74:75], v[34:35]
	v_mul_f64 v[84:85], v[72:73], v[34:35]
	v_fma_f64 v[26:27], v[72:73], v[32:33], -v[26:27]
	v_fmac_f64_e32 v[84:85], v[74:75], v[32:33]
	s_waitcnt vmcnt(8) lgkmcnt(2)
	v_mul_f64 v[72:73], v[78:79], v[38:39]
	ds_read_b128 v[32:35], v28 offset:20736
	v_fma_f64 v[86:87], v[76:77], v[36:37], -v[72:73]
	ds_read_b128 v[72:75], v28 offset:27648
	v_mul_f64 v[76:77], v[76:77], v[38:39]
	v_fmac_f64_e32 v[76:77], v[78:79], v[36:37]
	ds_read_b128 v[36:39], v28 offset:17280
	s_waitcnt vmcnt(7) lgkmcnt(2)
	v_mul_f64 v[78:79], v[34:35], v[42:43]
	v_mul_f64 v[88:89], v[32:33], v[42:43]
	v_fma_f64 v[78:79], v[32:33], v[40:41], -v[78:79]
	v_fmac_f64_e32 v[88:89], v[34:35], v[40:41]
	ds_read_b128 v[32:35], v28 offset:24192
	s_waitcnt vmcnt(6) lgkmcnt(2)
	v_mul_f64 v[90:91], v[74:75], v[46:47]
	ds_read_b128 v[40:43], v28 offset:34560
	v_mul_f64 v[92:93], v[72:73], v[46:47]
	v_fma_f64 v[90:91], v[72:73], v[44:45], -v[90:91]
	v_fmac_f64_e32 v[92:93], v[74:75], v[44:45]
	ds_read_b128 v[44:47], v28 offset:38016
	ds_read_b128 v[72:75], v28 offset:10368
	s_waitcnt vmcnt(5) lgkmcnt(2)
	v_mul_f64 v[94:95], v[42:43], v[50:51]
	v_mul_f64 v[50:51], v[40:41], v[50:51]
	v_fma_f64 v[94:95], v[40:41], v[48:49], -v[94:95]
	v_fmac_f64_e32 v[50:51], v[42:43], v[48:49]
	ds_read_b128 v[40:43], v28
	s_waitcnt vmcnt(4) lgkmcnt(1)
	v_mul_f64 v[48:49], v[74:75], v[54:55]
	v_mul_f64 v[54:55], v[72:73], v[54:55]
	v_fma_f64 v[48:49], v[72:73], v[52:53], -v[48:49]
	v_fmac_f64_e32 v[54:55], v[74:75], v[52:53]
	s_waitcnt vmcnt(3)
	v_mul_f64 v[52:53], v[38:39], v[58:59]
	v_fma_f64 v[52:53], v[36:37], v[56:57], -v[52:53]
	v_mul_f64 v[58:59], v[36:37], v[58:59]
	s_waitcnt vmcnt(2)
	v_mul_f64 v[36:37], v[34:35], v[62:63]
	v_fmac_f64_e32 v[58:59], v[38:39], v[56:57]
	v_fma_f64 v[56:57], v[32:33], v[60:61], -v[36:37]
	v_mul_f64 v[62:63], v[32:33], v[62:63]
	s_waitcnt vmcnt(1)
	v_mul_f64 v[32:33], v[82:83], v[66:67]
	v_fmac_f64_e32 v[62:63], v[34:35], v[60:61]
	;; [unrolled: 5-line block ×3, first 2 shown]
	v_fma_f64 v[64:65], v[44:45], v[68:69], -v[32:33]
	v_add_f64 v[32:33], v[86:87], v[90:91]
	v_mul_f64 v[70:71], v[44:45], v[70:71]
	s_waitcnt lgkmcnt(0)
	v_add_f64 v[44:45], v[40:41], v[86:87]
	v_fmac_f64_e32 v[40:41], -0.5, v[32:33]
	v_add_f64 v[32:33], v[76:77], -v[92:93]
	v_fmac_f64_e32 v[70:71], v[46:47], v[68:69]
	v_fma_f64 v[68:69], s[4:5], v[32:33], v[40:41]
	v_fmac_f64_e32 v[40:41], s[10:11], v[32:33]
	v_add_f64 v[32:33], v[76:77], v[92:93]
	v_add_f64 v[46:47], v[42:43], v[76:77]
	v_fmac_f64_e32 v[42:43], -0.5, v[32:33]
	v_add_f64 v[32:33], v[86:87], -v[90:91]
	v_fma_f64 v[72:73], s[10:11], v[32:33], v[42:43]
	v_fmac_f64_e32 v[42:43], s[4:5], v[32:33]
	v_add_f64 v[32:33], v[78:79], v[94:95]
	v_add_f64 v[74:75], v[26:27], v[78:79]
	v_fmac_f64_e32 v[26:27], -0.5, v[32:33]
	v_add_f64 v[32:33], v[88:89], -v[50:51]
	;; [unrolled: 6-line block ×3, first 2 shown]
	v_fma_f64 v[78:79], s[10:11], v[32:33], v[84:85]
	v_fmac_f64_e32 v[84:85], s[4:5], v[32:33]
	v_mul_f64 v[36:37], v[26:27], -0.5
	v_fmac_f64_e32 v[36:37], s[4:5], v[84:85]
	v_mul_f64 v[38:39], v[84:85], -0.5
	v_add_f64 v[32:33], v[40:41], v[36:37]
	v_add_f64 v[36:37], v[40:41], -v[36:37]
	v_add_f64 v[40:41], v[52:53], v[60:61]
	v_fmac_f64_e32 v[38:39], s[10:11], v[26:27]
	v_add_f64 v[26:27], v[0:1], v[52:53]
	v_fmac_f64_e32 v[0:1], -0.5, v[40:41]
	v_add_f64 v[40:41], v[58:59], -v[66:67]
	v_fma_f64 v[82:83], s[4:5], v[40:41], v[0:1]
	v_fmac_f64_e32 v[0:1], s[10:11], v[40:41]
	v_add_f64 v[40:41], v[58:59], v[66:67]
	v_add_f64 v[84:85], v[2:3], v[58:59]
	v_fmac_f64_e32 v[2:3], -0.5, v[40:41]
	v_add_f64 v[40:41], v[52:53], -v[60:61]
	v_fma_f64 v[86:87], s[10:11], v[40:41], v[2:3]
	v_fmac_f64_e32 v[2:3], s[4:5], v[40:41]
	v_add_f64 v[40:41], v[56:57], v[64:65]
	;; [unrolled: 6-line block ×3, first 2 shown]
	v_add_f64 v[98:99], v[54:55], v[62:63]
	v_fmac_f64_e32 v[54:55], -0.5, v[40:41]
	v_add_f64 v[40:41], v[56:57], -v[64:65]
	v_fma_f64 v[100:101], s[10:11], v[40:41], v[54:55]
	v_fmac_f64_e32 v[54:55], s[4:5], v[40:41]
	v_mul_f64 v[52:53], v[48:49], -0.5
	v_fmac_f64_e32 v[52:53], s[4:5], v[54:55]
	v_mul_f64 v[54:55], v[54:55], -0.5
	v_fmac_f64_e32 v[54:55], s[10:11], v[48:49]
	v_add_f64 v[34:35], v[42:43], v[38:39]
	v_add_f64 v[38:39], v[42:43], -v[38:39]
	v_add_f64 v[40:41], v[0:1], v[52:53]
	v_add_f64 v[42:43], v[2:3], v[54:55]
	v_add_f64 v[0:1], v[0:1], -v[52:53]
	v_add_f64 v[2:3], v[2:3], -v[54:55]
	v_add_f64 v[48:49], v[44:45], v[90:91]
	v_add_f64 v[52:53], v[46:47], v[92:93]
	;; [unrolled: 1-line block ×4, first 2 shown]
	v_mul_f64 v[56:57], v[78:79], s[4:5]
	v_mul_f64 v[58:59], v[76:77], s[10:11]
	v_add_f64 v[44:45], v[48:49], v[54:55]
	v_add_f64 v[46:47], v[52:53], v[50:51]
	v_fmac_f64_e32 v[56:57], 0.5, v[76:77]
	v_fmac_f64_e32 v[58:59], 0.5, v[78:79]
	v_add_f64 v[26:27], v[26:27], v[60:61]
	v_add_f64 v[64:65], v[88:89], v[64:65]
	v_add_f64 v[48:49], v[48:49], -v[54:55]
	v_add_f64 v[50:51], v[52:53], -v[50:51]
	v_add_f64 v[52:53], v[68:69], v[56:57]
	v_add_f64 v[54:55], v[72:73], v[58:59]
	v_add_f64 v[56:57], v[68:69], -v[56:57]
	v_add_f64 v[58:59], v[72:73], -v[58:59]
	v_add_f64 v[66:67], v[84:85], v[66:67]
	v_add_f64 v[68:69], v[98:99], v[70:71]
	v_add_f64 v[60:61], v[26:27], v[64:65]
	v_add_f64 v[64:65], v[26:27], -v[64:65]
	v_mul_f64 v[26:27], v[100:101], s[4:5]
	v_mul_f64 v[74:75], v[96:97], s[10:11]
	s_barrier
	ds_write_b128 v6, v[44:47]
	ds_write_b128 v6, v[52:55] offset:576
	ds_write_b128 v6, v[32:35] offset:1152
	;; [unrolled: 1-line block ×5, first 2 shown]
	v_lshlrev_b32_e32 v6, 4, v102
	v_add_f64 v[62:63], v[66:67], v[68:69]
	v_fmac_f64_e32 v[26:27], 0.5, v[96:97]
	v_fmac_f64_e32 v[74:75], 0.5, v[100:101]
	v_add3_u32 v5, 0, v5, v6
	v_add_f64 v[66:67], v[66:67], -v[68:69]
	v_add_f64 v[68:69], v[82:83], v[26:27]
	v_add_f64 v[70:71], v[86:87], v[74:75]
	v_add_f64 v[72:73], v[82:83], -v[26:27]
	v_add_f64 v[74:75], v[86:87], -v[74:75]
	ds_write_b128 v5, v[60:63]
	ds_write_b128 v5, v[68:71] offset:576
	ds_write_b128 v5, v[40:43] offset:1152
	;; [unrolled: 1-line block ×5, first 2 shown]
	v_mul_u32_u24_e32 v0, 5, v12
	v_lshlrev_b32_e32 v0, 4, v0
	s_waitcnt lgkmcnt(0)
	s_barrier
	global_load_dwordx4 v[32:35], v0, s[8:9] offset:3360
	global_load_dwordx4 v[36:39], v0, s[8:9] offset:3376
	;; [unrolled: 1-line block ×5, first 2 shown]
	ds_read_b128 v[52:55], v31
	ds_read_b128 v[56:59], v30
	;; [unrolled: 1-line block ×3, first 2 shown]
	ds_read_b128 v[60:63], v28 offset:31104
	ds_read_b128 v[64:67], v28 offset:10368
	s_waitcnt vmcnt(4) lgkmcnt(4)
	v_mul_f64 v[6:7], v[54:55], v[34:35]
	v_mul_f64 v[26:27], v[52:53], v[34:35]
	v_fma_f64 v[6:7], v[52:53], v[32:33], -v[6:7]
	v_fmac_f64_e32 v[26:27], v[54:55], v[32:33]
	ds_read_b128 v[52:55], v28
	s_waitcnt lgkmcnt(1)
	v_mul_f64 v[68:69], v[66:67], v[34:35]
	v_mul_f64 v[70:71], v[64:65], v[34:35]
	v_fma_f64 v[68:69], v[64:65], v[32:33], -v[68:69]
	v_fmac_f64_e32 v[70:71], v[66:67], v[32:33]
	ds_read_b128 v[32:35], v28 offset:20736
	ds_read_b128 v[64:67], v28 offset:17280
	s_waitcnt vmcnt(3)
	v_mul_f64 v[72:73], v[58:59], v[38:39]
	v_fma_f64 v[72:73], v[56:57], v[36:37], -v[72:73]
	v_mul_f64 v[56:57], v[56:57], v[38:39]
	v_fmac_f64_e32 v[56:57], v[58:59], v[36:37]
	s_waitcnt lgkmcnt(0)
	v_mul_f64 v[58:59], v[66:67], v[38:39]
	v_fma_f64 v[58:59], v[64:65], v[36:37], -v[58:59]
	v_mul_f64 v[64:65], v[64:65], v[38:39]
	v_fmac_f64_e32 v[64:65], v[66:67], v[36:37]
	s_waitcnt vmcnt(2)
	v_mul_f64 v[66:67], v[34:35], v[42:43]
	ds_read_b128 v[36:39], v28 offset:24192
	v_mul_f64 v[74:75], v[32:33], v[42:43]
	v_fma_f64 v[66:67], v[32:33], v[40:41], -v[66:67]
	v_fmac_f64_e32 v[74:75], v[34:35], v[40:41]
	ds_read_b128 v[32:35], v28 offset:27648
	s_waitcnt lgkmcnt(1)
	v_mul_f64 v[76:77], v[38:39], v[42:43]
	v_fma_f64 v[76:77], v[36:37], v[40:41], -v[76:77]
	v_mul_f64 v[42:43], v[36:37], v[42:43]
	v_fmac_f64_e32 v[42:43], v[38:39], v[40:41]
	s_waitcnt vmcnt(1) lgkmcnt(0)
	v_mul_f64 v[36:37], v[34:35], v[46:47]
	v_mul_f64 v[80:81], v[32:33], v[46:47]
	v_fma_f64 v[78:79], v[32:33], v[44:45], -v[36:37]
	v_fmac_f64_e32 v[80:81], v[34:35], v[44:45]
	v_mul_f64 v[36:37], v[62:63], v[46:47]
	ds_read_b128 v[32:35], v28 offset:34560
	v_fma_f64 v[82:83], v[60:61], v[44:45], -v[36:37]
	ds_read_b128 v[36:39], v28 offset:38016
	v_mul_f64 v[60:61], v[60:61], v[46:47]
	v_fmac_f64_e32 v[60:61], v[62:63], v[44:45]
	s_waitcnt vmcnt(0) lgkmcnt(1)
	v_mul_f64 v[40:41], v[34:35], v[50:51]
	v_fma_f64 v[44:45], v[32:33], v[48:49], -v[40:41]
	v_mul_f64 v[46:47], v[32:33], v[50:51]
	s_waitcnt lgkmcnt(0)
	v_mul_f64 v[32:33], v[38:39], v[50:51]
	v_fma_f64 v[62:63], v[36:37], v[48:49], -v[32:33]
	v_mul_f64 v[84:85], v[36:37], v[50:51]
	v_add_f64 v[32:33], v[72:73], v[78:79]
	v_fmac_f64_e32 v[46:47], v[34:35], v[48:49]
	v_fmac_f64_e32 v[84:85], v[38:39], v[48:49]
	v_add_f64 v[48:49], v[52:53], v[72:73]
	v_fmac_f64_e32 v[52:53], -0.5, v[32:33]
	v_add_f64 v[32:33], v[56:57], -v[80:81]
	v_fma_f64 v[86:87], s[4:5], v[32:33], v[52:53]
	v_fmac_f64_e32 v[52:53], s[10:11], v[32:33]
	v_add_f64 v[32:33], v[56:57], v[80:81]
	v_add_f64 v[50:51], v[54:55], v[56:57]
	v_fmac_f64_e32 v[54:55], -0.5, v[32:33]
	v_add_f64 v[32:33], v[72:73], -v[78:79]
	v_fma_f64 v[72:73], s[10:11], v[32:33], v[54:55]
	v_fmac_f64_e32 v[54:55], s[4:5], v[32:33]
	v_add_f64 v[32:33], v[66:67], v[44:45]
	;; [unrolled: 6-line block ×3, first 2 shown]
	v_add_f64 v[90:91], v[26:27], v[74:75]
	v_fmac_f64_e32 v[26:27], -0.5, v[32:33]
	v_add_f64 v[32:33], v[66:67], -v[44:45]
	v_fma_f64 v[66:67], s[10:11], v[32:33], v[26:27]
	v_fmac_f64_e32 v[26:27], s[4:5], v[32:33]
	v_mul_f64 v[36:37], v[6:7], -0.5
	v_fmac_f64_e32 v[36:37], s[4:5], v[26:27]
	v_mul_f64 v[26:27], v[26:27], -0.5
	v_fmac_f64_e32 v[26:27], s[10:11], v[6:7]
	v_add_f64 v[34:35], v[54:55], v[26:27]
	v_add_f64 v[38:39], v[54:55], -v[26:27]
	v_add_f64 v[26:27], v[58:59], v[82:83]
	v_add_f64 v[6:7], v[0:1], v[58:59]
	v_fmac_f64_e32 v[0:1], -0.5, v[26:27]
	v_add_f64 v[26:27], v[64:65], -v[60:61]
	v_add_f64 v[40:41], v[64:65], v[60:61]
	v_fma_f64 v[74:75], s[4:5], v[26:27], v[0:1]
	v_fmac_f64_e32 v[0:1], s[10:11], v[26:27]
	v_add_f64 v[26:27], v[2:3], v[64:65]
	v_fmac_f64_e32 v[2:3], -0.5, v[40:41]
	v_add_f64 v[40:41], v[58:59], -v[82:83]
	v_fma_f64 v[92:93], s[10:11], v[40:41], v[2:3]
	v_fmac_f64_e32 v[2:3], s[4:5], v[40:41]
	v_add_f64 v[40:41], v[76:77], v[62:63]
	v_add_f64 v[64:65], v[68:69], v[76:77]
	v_fmac_f64_e32 v[68:69], -0.5, v[40:41]
	v_add_f64 v[40:41], v[42:43], -v[84:85]
	v_fma_f64 v[94:95], s[4:5], v[40:41], v[68:69]
	v_fmac_f64_e32 v[68:69], s[10:11], v[40:41]
	v_add_f64 v[40:41], v[42:43], v[84:85]
	v_add_f64 v[96:97], v[70:71], v[42:43]
	v_fmac_f64_e32 v[70:71], -0.5, v[40:41]
	v_add_f64 v[40:41], v[76:77], -v[62:63]
	v_add_f64 v[32:33], v[52:53], v[36:37]
	v_add_f64 v[36:37], v[52:53], -v[36:37]
	v_fma_f64 v[76:77], s[10:11], v[40:41], v[70:71]
	v_fmac_f64_e32 v[70:71], s[4:5], v[40:41]
	v_mul_f64 v[52:53], v[68:69], -0.5
	v_fmac_f64_e32 v[52:53], s[4:5], v[70:71]
	v_mul_f64 v[54:55], v[70:71], -0.5
	v_mul_f64 v[58:59], v[88:89], s[10:11]
	v_fmac_f64_e32 v[54:55], s[10:11], v[68:69]
	v_add_f64 v[40:41], v[0:1], v[52:53]
	v_add_f64 v[0:1], v[0:1], -v[52:53]
	v_add_f64 v[52:53], v[56:57], v[44:45]
	v_mul_f64 v[56:57], v[66:67], s[4:5]
	v_fmac_f64_e32 v[58:59], 0.5, v[66:67]
	v_add_f64 v[6:7], v[6:7], v[82:83]
	v_add_f64 v[26:27], v[26:27], v[60:61]
	;; [unrolled: 1-line block ×5, first 2 shown]
	v_add_f64 v[2:3], v[2:3], -v[54:55]
	v_add_f64 v[48:49], v[48:49], v[78:79]
	v_add_f64 v[50:51], v[50:51], v[80:81]
	;; [unrolled: 1-line block ×5, first 2 shown]
	v_add_f64 v[64:65], v[6:7], -v[64:65]
	v_add_f64 v[66:67], v[26:27], -v[66:67]
	v_mul_f64 v[6:7], v[76:77], s[4:5]
	v_mul_f64 v[26:27], v[94:95], s[10:11]
	v_add_f64 v[44:45], v[48:49], v[52:53]
	v_add_f64 v[46:47], v[50:51], v[54:55]
	v_fmac_f64_e32 v[56:57], 0.5, v[88:89]
	v_fmac_f64_e32 v[6:7], 0.5, v[94:95]
	v_fmac_f64_e32 v[26:27], 0.5, v[76:77]
	v_add_f64 v[48:49], v[48:49], -v[52:53]
	v_add_f64 v[50:51], v[50:51], -v[54:55]
	v_add_f64 v[52:53], v[86:87], v[56:57]
	v_add_f64 v[54:55], v[72:73], v[58:59]
	v_add_f64 v[56:57], v[86:87], -v[56:57]
	v_add_f64 v[58:59], v[72:73], -v[58:59]
	v_add_f64 v[68:69], v[74:75], v[6:7]
	v_add_f64 v[70:71], v[92:93], v[26:27]
	v_add_f64 v[72:73], v[74:75], -v[6:7]
	v_add_f64 v[74:75], v[92:93], -v[26:27]
	s_barrier
	ds_write_b128 v28, v[44:47]
	ds_write_b128 v28, v[52:55] offset:3456
	ds_write_b128 v28, v[32:35] offset:6912
	ds_write_b128 v28, v[48:51] offset:10368
	ds_write_b128 v28, v[56:59] offset:13824
	ds_write_b128 v28, v[36:39] offset:17280
	ds_write_b128 v28, v[60:63] offset:20736
	ds_write_b128 v28, v[68:71] offset:24192
	ds_write_b128 v28, v[40:43] offset:27648
	ds_write_b128 v28, v[64:67] offset:31104
	ds_write_b128 v28, v[72:75] offset:34560
	ds_write_b128 v28, v[0:3] offset:38016
	v_lshl_add_u64 v[0:1], v[12:13], 4, s[8:9]
	s_movk_i32 s4, 0x5000
	v_add_co_u32_e32 v0, vcc, s4, v0
	v_lshl_add_u64 v[6:7], v[22:23], 4, s[8:9]
	s_nop 0
	v_addc_co_u32_e32 v1, vcc, 0, v1, vcc
	v_add_co_u32_e32 v6, vcc, s4, v6
	s_waitcnt lgkmcnt(0)
	s_barrier
	global_load_dwordx4 v[0:3], v[0:1], off offset:160
	v_addc_co_u32_e32 v7, vcc, 0, v7, vcc
	global_load_dwordx4 v[32:35], v[6:7], off offset:160
	v_lshl_add_u64 v[6:7], v[20:21], 4, s[8:9]
	v_add_co_u32_e32 v6, vcc, s4, v6
	s_nop 1
	v_addc_co_u32_e32 v7, vcc, 0, v7, vcc
	global_load_dwordx4 v[36:39], v[6:7], off offset:160
	v_lshl_add_u64 v[6:7], v[18:19], 4, s[8:9]
	v_add_co_u32_e32 v6, vcc, s4, v6
	s_nop 1
	;; [unrolled: 5-line block ×3, first 2 shown]
	v_addc_co_u32_e32 v7, vcc, 0, v7, vcc
	global_load_dwordx4 v[44:47], v[6:7], off offset:160
	v_lshl_add_u64 v[6:7], v[14:15], 4, s[8:9]
	v_add_co_u32_e32 v6, vcc, s4, v6
	s_add_u32 s4, s8, 0xa1a0
	s_nop 0
	v_addc_co_u32_e32 v7, vcc, 0, v7, vcc
	global_load_dwordx4 v[48:51], v[6:7], off offset:160
	ds_read_b128 v[52:55], v28 offset:20736
	ds_read_b128 v[56:59], v28
	ds_read_b128 v[60:63], v28 offset:24192
	s_addc_u32 s5, s9, 0
	v_cmp_ne_u32_e32 vcc, 0, v12
	s_waitcnt vmcnt(5) lgkmcnt(2)
	v_mul_f64 v[6:7], v[54:55], v[2:3]
	v_mul_f64 v[26:27], v[52:53], v[2:3]
	v_fma_f64 v[6:7], v[52:53], v[0:1], -v[6:7]
	v_fmac_f64_e32 v[26:27], v[54:55], v[0:1]
	ds_read_b128 v[0:3], v28 offset:27648
	s_waitcnt vmcnt(4) lgkmcnt(1)
	v_mul_f64 v[52:53], v[62:63], v[34:35]
	v_fma_f64 v[64:65], v[60:61], v[32:33], -v[52:53]
	ds_read_b128 v[52:55], v28 offset:31104
	v_mul_f64 v[60:61], v[60:61], v[34:35]
	v_fmac_f64_e32 v[60:61], v[62:63], v[32:33]
	s_waitcnt vmcnt(3) lgkmcnt(1)
	v_mul_f64 v[34:35], v[2:3], v[38:39]
	v_mul_f64 v[66:67], v[0:1], v[38:39]
	v_fma_f64 v[62:63], v[0:1], v[36:37], -v[34:35]
	v_fmac_f64_e32 v[66:67], v[2:3], v[36:37]
	ds_read_b128 v[0:3], v31
	ds_read_b128 v[34:37], v28 offset:34560
	v_lshl_add_u32 v32, v14, 4, 0
	s_waitcnt vmcnt(2) lgkmcnt(2)
	v_mul_f64 v[38:39], v[54:55], v[42:43]
	v_mul_f64 v[70:71], v[52:53], v[42:43]
	v_fma_f64 v[68:69], v[52:53], v[40:41], -v[38:39]
	v_fmac_f64_e32 v[70:71], v[54:55], v[40:41]
	ds_read_b128 v[38:41], v28 offset:38016
	v_lshl_add_u32 v33, v18, 4, 0
	s_waitcnt lgkmcnt(2)
	v_add_f64 v[54:55], v[0:1], -v[62:63]
	s_waitcnt vmcnt(1) lgkmcnt(1)
	v_mul_f64 v[42:43], v[36:37], v[46:47]
	v_fma_f64 v[72:73], v[34:35], v[44:45], -v[42:43]
	v_mul_f64 v[74:75], v[34:35], v[46:47]
	v_fmac_f64_e32 v[74:75], v[36:37], v[44:45]
	v_add_f64 v[44:45], v[58:59], -v[26:27]
	v_add_f64 v[42:43], v[56:57], -v[6:7]
	v_fma_f64 v[46:47], v[56:57], 2.0, -v[42:43]
	s_waitcnt vmcnt(0) lgkmcnt(0)
	v_mul_f64 v[34:35], v[40:41], v[50:51]
	v_mul_f64 v[78:79], v[38:39], v[50:51]
	v_fma_f64 v[76:77], v[38:39], v[48:49], -v[34:35]
	v_fmac_f64_e32 v[78:79], v[40:41], v[48:49]
	ds_read_b128 v[34:37], v4
	ds_read_b128 v[38:41], v32
	v_fma_f64 v[48:49], v[58:59], 2.0, -v[44:45]
	v_add_f64 v[56:57], v[2:3], -v[66:67]
	v_fma_f64 v[0:1], v[0:1], 2.0, -v[54:55]
	s_waitcnt lgkmcnt(1)
	v_add_f64 v[50:51], v[34:35], -v[64:65]
	v_add_f64 v[52:53], v[36:37], -v[60:61]
	ds_read_b128 v[58:61], v33
	ds_read_b128 v[62:65], v30
	v_fma_f64 v[34:35], v[34:35], 2.0, -v[50:51]
	v_fma_f64 v[36:37], v[36:37], 2.0, -v[52:53]
	;; [unrolled: 1-line block ×3, first 2 shown]
	s_waitcnt lgkmcnt(1)
	v_add_f64 v[66:67], v[58:59], -v[68:69]
	v_add_f64 v[68:69], v[60:61], -v[70:71]
	s_waitcnt lgkmcnt(0)
	v_add_f64 v[70:71], v[62:63], -v[72:73]
	v_add_f64 v[72:73], v[64:65], -v[74:75]
	;; [unrolled: 1-line block ×4, first 2 shown]
	v_fma_f64 v[58:59], v[58:59], 2.0, -v[66:67]
	v_fma_f64 v[60:61], v[60:61], 2.0, -v[68:69]
	;; [unrolled: 1-line block ×6, first 2 shown]
	s_barrier
	ds_write_b128 v28, v[46:49]
	ds_write_b128 v28, v[42:45] offset:20736
	ds_write_b128 v4, v[34:37]
	ds_write_b128 v4, v[50:53] offset:20736
	;; [unrolled: 2-line block ×6, first 2 shown]
	s_waitcnt lgkmcnt(0)
	s_barrier
	ds_read_b128 v[4:7], v28
	v_sub_u32_e32 v34, 0, v24
                                        ; implicit-def: $vgpr0_vgpr1
                                        ; implicit-def: $vgpr24_vgpr25
                                        ; implicit-def: $vgpr26_vgpr27
	s_and_saveexec_b64 s[8:9], vcc
	s_xor_b64 s[8:9], exec, s[8:9]
	s_cbranch_execz .LBB0_15
; %bb.14:
	v_lshl_add_u64 v[0:1], v[12:13], 4, s[4:5]
	global_load_dwordx4 v[36:39], v[0:1], off
	ds_read_b128 v[0:3], v34 offset:41472
	s_waitcnt lgkmcnt(0)
	v_add_f64 v[40:41], v[4:5], v[0:1]
	v_add_f64 v[0:1], v[4:5], -v[0:1]
	v_add_f64 v[24:25], v[6:7], v[2:3]
	v_add_f64 v[2:3], v[6:7], -v[2:3]
	v_mul_f64 v[6:7], v[0:1], 0.5
	v_mul_f64 v[4:5], v[24:25], 0.5
	;; [unrolled: 1-line block ×3, first 2 shown]
	s_waitcnt vmcnt(0)
	v_mul_f64 v[2:3], v[6:7], v[38:39]
	v_fma_f64 v[26:27], v[4:5], v[38:39], v[0:1]
	v_fma_f64 v[38:39], v[4:5], v[38:39], -v[0:1]
	v_fma_f64 v[24:25], 0.5, v[40:41], v[2:3]
	v_fma_f64 v[0:1], v[40:41], 0.5, -v[2:3]
	v_fma_f64 v[26:27], -v[36:37], v[6:7], v[26:27]
	v_fmac_f64_e32 v[24:25], v[4:5], v[36:37]
	v_fma_f64 v[0:1], -v[4:5], v[36:37], v[0:1]
	v_fma_f64 v[2:3], -v[36:37], v[6:7], v[38:39]
                                        ; implicit-def: $vgpr4_vgpr5
.LBB0_15:
	s_or_saveexec_b64 s[8:9], s[8:9]
	v_mul_i32_i24_e32 v13, 0xffffffb0, v22
	s_xor_b64 exec, exec, s[8:9]
	s_cbranch_execz .LBB0_17
; %bb.16:
	v_mov_b32_e32 v35, 0
	ds_read_b64 v[2:3], v35 offset:20744
	v_mov_b64_e32 v[26:27], 0
	s_waitcnt lgkmcnt(1)
	v_add_f64 v[24:25], v[4:5], v[6:7]
	v_add_f64 v[0:1], v[4:5], -v[6:7]
	s_waitcnt lgkmcnt(0)
	v_xor_b32_e32 v3, 0x80000000, v3
	ds_write_b64 v35, v[2:3] offset:20744
	v_mov_b64_e32 v[2:3], v[26:27]
.LBB0_17:
	s_or_b64 exec, exec, s[8:9]
	s_waitcnt lgkmcnt(0)
	v_lshl_add_u64 v[4:5], v[22:23], 4, s[4:5]
	global_load_dwordx4 v[4:7], v[4:5], off
	v_lshl_add_u64 v[20:21], v[20:21], 4, s[4:5]
	global_load_dwordx4 v[20:23], v[20:21], off
	;; [unrolled: 2-line block ×3, first 2 shown]
	ds_write2_b64 v28, v[24:25], v[26:27] offset1:1
	ds_write_b128 v34, v[0:3] offset:41472
	v_add_u32_e32 v13, v29, v13
	v_lshl_add_u64 v[16:17], v[16:17], 4, s[4:5]
	ds_read_b128 v[0:3], v13
	ds_read_b128 v[24:27], v34 offset:38016
	global_load_dwordx4 v[16:19], v[16:17], off
	v_lshl_add_u64 v[14:15], v[14:15], 4, s[4:5]
	s_waitcnt lgkmcnt(0)
	v_add_f64 v[28:29], v[0:1], v[24:25]
	v_add_f64 v[40:41], v[2:3], v[26:27]
	v_add_f64 v[0:1], v[0:1], -v[24:25]
	v_add_f64 v[2:3], v[2:3], -v[26:27]
	v_mul_f64 v[24:25], v[40:41], 0.5
	v_mul_f64 v[0:1], v[0:1], 0.5
	;; [unrolled: 1-line block ×3, first 2 shown]
	s_waitcnt vmcnt(3)
	v_mul_f64 v[26:27], v[0:1], v[6:7]
	v_fma_f64 v[40:41], v[24:25], v[6:7], v[2:3]
	v_fma_f64 v[2:3], v[24:25], v[6:7], -v[2:3]
	v_fma_f64 v[6:7], 0.5, v[28:29], v[26:27]
	v_fma_f64 v[40:41], -v[4:5], v[0:1], v[40:41]
	v_fma_f64 v[26:27], v[28:29], 0.5, -v[26:27]
	v_fma_f64 v[0:1], -v[4:5], v[0:1], v[2:3]
	v_fmac_f64_e32 v[6:7], v[24:25], v[4:5]
	ds_write_b64 v13, v[40:41] offset:8
	v_fma_f64 v[2:3], -v[24:25], v[4:5], v[26:27]
	ds_write_b64 v34, v[0:1] offset:38024
	ds_write_b64 v13, v[6:7]
	ds_write_b64 v34, v[2:3] offset:38016
	ds_read_b128 v[0:3], v31
	ds_read_b128 v[4:7], v34 offset:34560
	global_load_dwordx4 v[24:27], v[14:15], off
	s_waitcnt lgkmcnt(0)
	v_add_f64 v[14:15], v[0:1], v[4:5]
	v_add_f64 v[0:1], v[0:1], -v[4:5]
	v_add_f64 v[28:29], v[2:3], v[6:7]
	v_add_f64 v[2:3], v[2:3], -v[6:7]
	v_mul_f64 v[0:1], v[0:1], 0.5
	v_mul_f64 v[4:5], v[28:29], 0.5
	;; [unrolled: 1-line block ×3, first 2 shown]
	s_waitcnt vmcnt(3)
	v_mul_f64 v[6:7], v[0:1], v[22:23]
	v_fma_f64 v[28:29], v[4:5], v[22:23], v[2:3]
	v_fma_f64 v[2:3], v[4:5], v[22:23], -v[2:3]
	v_fma_f64 v[22:23], 0.5, v[14:15], v[6:7]
	v_fma_f64 v[28:29], -v[20:21], v[0:1], v[28:29]
	v_fma_f64 v[6:7], v[14:15], 0.5, -v[6:7]
	v_fmac_f64_e32 v[22:23], v[4:5], v[20:21]
	v_fma_f64 v[2:3], -v[20:21], v[0:1], v[2:3]
	v_fma_f64 v[0:1], -v[4:5], v[20:21], v[6:7]
	ds_write2_b64 v31, v[22:23], v[28:29] offset1:1
	ds_write_b128 v34, v[0:3] offset:34560
	ds_read_b128 v[0:3], v33
	ds_read_b128 v[4:7], v34 offset:31104
	s_waitcnt lgkmcnt(0)
	v_add_f64 v[14:15], v[0:1], v[4:5]
	v_add_f64 v[0:1], v[0:1], -v[4:5]
	v_add_f64 v[20:21], v[2:3], v[6:7]
	v_add_f64 v[2:3], v[2:3], -v[6:7]
	v_mul_f64 v[0:1], v[0:1], 0.5
	v_mul_f64 v[4:5], v[20:21], 0.5
	;; [unrolled: 1-line block ×3, first 2 shown]
	s_waitcnt vmcnt(2)
	v_mul_f64 v[6:7], v[0:1], v[38:39]
	v_fma_f64 v[20:21], v[4:5], v[38:39], v[2:3]
	v_fma_f64 v[22:23], 0.5, v[14:15], v[6:7]
	v_fma_f64 v[2:3], v[4:5], v[38:39], -v[2:3]
	v_fma_f64 v[20:21], -v[36:37], v[0:1], v[20:21]
	v_fma_f64 v[6:7], v[14:15], 0.5, -v[6:7]
	v_fmac_f64_e32 v[22:23], v[4:5], v[36:37]
	v_fma_f64 v[2:3], -v[36:37], v[0:1], v[2:3]
	v_fma_f64 v[0:1], -v[4:5], v[36:37], v[6:7]
	ds_write2_b64 v33, v[22:23], v[20:21] offset1:1
	ds_write_b128 v34, v[0:3] offset:31104
	ds_read_b128 v[0:3], v30
	ds_read_b128 v[4:7], v34 offset:27648
	s_waitcnt lgkmcnt(0)
	v_add_f64 v[14:15], v[0:1], v[4:5]
	v_add_f64 v[0:1], v[0:1], -v[4:5]
	v_add_f64 v[20:21], v[2:3], v[6:7]
	v_add_f64 v[2:3], v[2:3], -v[6:7]
	v_mul_f64 v[0:1], v[0:1], 0.5
	v_mul_f64 v[4:5], v[20:21], 0.5
	;; [unrolled: 1-line block ×3, first 2 shown]
	s_waitcnt vmcnt(1)
	v_mul_f64 v[6:7], v[0:1], v[18:19]
	v_fma_f64 v[20:21], v[4:5], v[18:19], v[2:3]
	v_fma_f64 v[2:3], v[4:5], v[18:19], -v[2:3]
	v_fma_f64 v[18:19], 0.5, v[14:15], v[6:7]
	v_fma_f64 v[20:21], -v[16:17], v[0:1], v[20:21]
	v_fma_f64 v[6:7], v[14:15], 0.5, -v[6:7]
	v_fmac_f64_e32 v[18:19], v[4:5], v[16:17]
	v_fma_f64 v[2:3], -v[16:17], v[0:1], v[2:3]
	v_fma_f64 v[0:1], -v[4:5], v[16:17], v[6:7]
	ds_write2_b64 v30, v[18:19], v[20:21] offset1:1
	ds_write_b128 v34, v[0:3] offset:27648
	ds_read_b128 v[0:3], v32
	ds_read_b128 v[4:7], v34 offset:24192
	s_waitcnt lgkmcnt(0)
	v_add_f64 v[14:15], v[0:1], v[4:5]
	v_add_f64 v[0:1], v[0:1], -v[4:5]
	v_add_f64 v[16:17], v[2:3], v[6:7]
	v_add_f64 v[2:3], v[2:3], -v[6:7]
	v_mul_f64 v[0:1], v[0:1], 0.5
	v_mul_f64 v[4:5], v[16:17], 0.5
	v_mul_f64 v[2:3], v[2:3], 0.5
	s_waitcnt vmcnt(0)
	v_mul_f64 v[6:7], v[0:1], v[26:27]
	v_fma_f64 v[16:17], v[4:5], v[26:27], v[2:3]
	v_fma_f64 v[18:19], 0.5, v[14:15], v[6:7]
	v_fma_f64 v[2:3], v[4:5], v[26:27], -v[2:3]
	v_fma_f64 v[16:17], -v[24:25], v[0:1], v[16:17]
	v_fma_f64 v[6:7], v[14:15], 0.5, -v[6:7]
	v_fmac_f64_e32 v[18:19], v[4:5], v[24:25]
	v_fma_f64 v[2:3], -v[24:25], v[0:1], v[2:3]
	v_fma_f64 v[0:1], -v[4:5], v[24:25], v[6:7]
	ds_write2_b64 v32, v[18:19], v[16:17] offset1:1
	ds_write_b128 v34, v[0:3] offset:24192
	s_waitcnt lgkmcnt(0)
	s_barrier
	s_and_saveexec_b64 s[4:5], s[0:1]
	s_cbranch_execz .LBB0_20
; %bb.18:
	v_mul_lo_u32 v2, s3, v10
	v_mul_lo_u32 v3, s2, v11
	v_mad_u64_u32 v[0:1], s[0:1], s2, v10, 0
	v_lshl_add_u32 v14, v12, 4, 0
	v_add3_u32 v1, v1, v3, v2
	ds_read_b128 v[2:5], v14
	v_lshl_add_u64 v[0:1], v[0:1], 4, s[6:7]
	v_lshl_add_u64 v[0:1], v[8:9], 4, v[0:1]
	ds_read_b128 v[6:9], v14 offset:3456
	v_mov_b32_e32 v13, 0
	v_lshl_add_u64 v[10:11], v[12:13], 4, v[0:1]
	s_waitcnt lgkmcnt(1)
	global_store_dwordx4 v[10:11], v[2:5], off
	s_movk_i32 s0, 0xd7
	v_cmp_eq_u32_e32 vcc, s0, v12
	v_add_u32_e32 v2, 0xd8, v12
	v_mov_b32_e32 v3, v13
	v_lshl_add_u64 v[2:3], v[2:3], 4, v[0:1]
	s_waitcnt lgkmcnt(0)
	global_store_dwordx4 v[2:3], v[6:9], off
	ds_read_b128 v[2:5], v14 offset:6912
	s_nop 0
	v_add_u32_e32 v6, 0x1b0, v12
	v_mov_b32_e32 v7, v13
	v_lshl_add_u64 v[10:11], v[6:7], 4, v[0:1]
	ds_read_b128 v[6:9], v14 offset:10368
	s_waitcnt lgkmcnt(1)
	global_store_dwordx4 v[10:11], v[2:5], off
	s_nop 1
	v_add_u32_e32 v2, 0x288, v12
	v_mov_b32_e32 v3, v13
	v_lshl_add_u64 v[2:3], v[2:3], 4, v[0:1]
	s_waitcnt lgkmcnt(0)
	global_store_dwordx4 v[2:3], v[6:9], off
	ds_read_b128 v[2:5], v14 offset:13824
	s_nop 0
	v_add_u32_e32 v6, 0x360, v12
	v_mov_b32_e32 v7, v13
	v_lshl_add_u64 v[10:11], v[6:7], 4, v[0:1]
	ds_read_b128 v[6:9], v14 offset:17280
	s_waitcnt lgkmcnt(1)
	global_store_dwordx4 v[10:11], v[2:5], off
	s_nop 1
	;; [unrolled: 14-line block ×5, first 2 shown]
	v_add_u32_e32 v2, 0x948, v12
	v_mov_b32_e32 v3, v13
	v_lshl_add_u64 v[2:3], v[2:3], 4, v[0:1]
	s_waitcnt lgkmcnt(0)
	global_store_dwordx4 v[2:3], v[6:9], off
	s_and_b64 exec, exec, vcc
	s_cbranch_execz .LBB0_20
; %bb.19:
	ds_read_b128 v[2:5], v13 offset:41472
	v_add_co_u32_e32 v0, vcc, 0xa000, v0
	s_nop 1
	v_addc_co_u32_e32 v1, vcc, 0, v1, vcc
	s_waitcnt lgkmcnt(0)
	global_store_dwordx4 v[0:1], v[2:5], off offset:512
.LBB0_20:
	s_endpgm
	.section	.rodata,"a",@progbits
	.p2align	6, 0x0
	.amdhsa_kernel fft_rtc_fwd_len2592_factors_6_6_6_6_2_wgs_216_tpt_216_halfLds_dp_op_CI_CI_unitstride_sbrr_R2C_dirReg
		.amdhsa_group_segment_fixed_size 0
		.amdhsa_private_segment_fixed_size 0
		.amdhsa_kernarg_size 104
		.amdhsa_user_sgpr_count 2
		.amdhsa_user_sgpr_dispatch_ptr 0
		.amdhsa_user_sgpr_queue_ptr 0
		.amdhsa_user_sgpr_kernarg_segment_ptr 1
		.amdhsa_user_sgpr_dispatch_id 0
		.amdhsa_user_sgpr_kernarg_preload_length 0
		.amdhsa_user_sgpr_kernarg_preload_offset 0
		.amdhsa_user_sgpr_private_segment_size 0
		.amdhsa_uses_dynamic_stack 0
		.amdhsa_enable_private_segment 0
		.amdhsa_system_sgpr_workgroup_id_x 1
		.amdhsa_system_sgpr_workgroup_id_y 0
		.amdhsa_system_sgpr_workgroup_id_z 0
		.amdhsa_system_sgpr_workgroup_info 0
		.amdhsa_system_vgpr_workitem_id 0
		.amdhsa_next_free_vgpr 103
		.amdhsa_next_free_sgpr 28
		.amdhsa_accum_offset 104
		.amdhsa_reserve_vcc 1
		.amdhsa_float_round_mode_32 0
		.amdhsa_float_round_mode_16_64 0
		.amdhsa_float_denorm_mode_32 3
		.amdhsa_float_denorm_mode_16_64 3
		.amdhsa_dx10_clamp 1
		.amdhsa_ieee_mode 1
		.amdhsa_fp16_overflow 0
		.amdhsa_tg_split 0
		.amdhsa_exception_fp_ieee_invalid_op 0
		.amdhsa_exception_fp_denorm_src 0
		.amdhsa_exception_fp_ieee_div_zero 0
		.amdhsa_exception_fp_ieee_overflow 0
		.amdhsa_exception_fp_ieee_underflow 0
		.amdhsa_exception_fp_ieee_inexact 0
		.amdhsa_exception_int_div_zero 0
	.end_amdhsa_kernel
	.text
.Lfunc_end0:
	.size	fft_rtc_fwd_len2592_factors_6_6_6_6_2_wgs_216_tpt_216_halfLds_dp_op_CI_CI_unitstride_sbrr_R2C_dirReg, .Lfunc_end0-fft_rtc_fwd_len2592_factors_6_6_6_6_2_wgs_216_tpt_216_halfLds_dp_op_CI_CI_unitstride_sbrr_R2C_dirReg
                                        ; -- End function
	.section	.AMDGPU.csdata,"",@progbits
; Kernel info:
; codeLenInByte = 9552
; NumSgprs: 34
; NumVgprs: 103
; NumAgprs: 0
; TotalNumVgprs: 103
; ScratchSize: 0
; MemoryBound: 0
; FloatMode: 240
; IeeeMode: 1
; LDSByteSize: 0 bytes/workgroup (compile time only)
; SGPRBlocks: 4
; VGPRBlocks: 12
; NumSGPRsForWavesPerEU: 34
; NumVGPRsForWavesPerEU: 103
; AccumOffset: 104
; Occupancy: 4
; WaveLimiterHint : 1
; COMPUTE_PGM_RSRC2:SCRATCH_EN: 0
; COMPUTE_PGM_RSRC2:USER_SGPR: 2
; COMPUTE_PGM_RSRC2:TRAP_HANDLER: 0
; COMPUTE_PGM_RSRC2:TGID_X_EN: 1
; COMPUTE_PGM_RSRC2:TGID_Y_EN: 0
; COMPUTE_PGM_RSRC2:TGID_Z_EN: 0
; COMPUTE_PGM_RSRC2:TIDIG_COMP_CNT: 0
; COMPUTE_PGM_RSRC3_GFX90A:ACCUM_OFFSET: 25
; COMPUTE_PGM_RSRC3_GFX90A:TG_SPLIT: 0
	.text
	.p2alignl 6, 3212836864
	.fill 256, 4, 3212836864
	.type	__hip_cuid_9a1f6625f09e7722,@object ; @__hip_cuid_9a1f6625f09e7722
	.section	.bss,"aw",@nobits
	.globl	__hip_cuid_9a1f6625f09e7722
__hip_cuid_9a1f6625f09e7722:
	.byte	0                               ; 0x0
	.size	__hip_cuid_9a1f6625f09e7722, 1

	.ident	"AMD clang version 19.0.0git (https://github.com/RadeonOpenCompute/llvm-project roc-6.4.0 25133 c7fe45cf4b819c5991fe208aaa96edf142730f1d)"
	.section	".note.GNU-stack","",@progbits
	.addrsig
	.addrsig_sym __hip_cuid_9a1f6625f09e7722
	.amdgpu_metadata
---
amdhsa.kernels:
  - .agpr_count:     0
    .args:
      - .actual_access:  read_only
        .address_space:  global
        .offset:         0
        .size:           8
        .value_kind:     global_buffer
      - .offset:         8
        .size:           8
        .value_kind:     by_value
      - .actual_access:  read_only
        .address_space:  global
        .offset:         16
        .size:           8
        .value_kind:     global_buffer
      - .actual_access:  read_only
        .address_space:  global
        .offset:         24
        .size:           8
        .value_kind:     global_buffer
      - .actual_access:  read_only
        .address_space:  global
        .offset:         32
        .size:           8
        .value_kind:     global_buffer
      - .offset:         40
        .size:           8
        .value_kind:     by_value
      - .actual_access:  read_only
        .address_space:  global
        .offset:         48
        .size:           8
        .value_kind:     global_buffer
      - .actual_access:  read_only
        .address_space:  global
        .offset:         56
        .size:           8
        .value_kind:     global_buffer
      - .offset:         64
        .size:           4
        .value_kind:     by_value
      - .actual_access:  read_only
        .address_space:  global
        .offset:         72
        .size:           8
        .value_kind:     global_buffer
      - .actual_access:  read_only
        .address_space:  global
        .offset:         80
        .size:           8
        .value_kind:     global_buffer
      - .actual_access:  read_only
        .address_space:  global
        .offset:         88
        .size:           8
        .value_kind:     global_buffer
      - .actual_access:  write_only
        .address_space:  global
        .offset:         96
        .size:           8
        .value_kind:     global_buffer
    .group_segment_fixed_size: 0
    .kernarg_segment_align: 8
    .kernarg_segment_size: 104
    .language:       OpenCL C
    .language_version:
      - 2
      - 0
    .max_flat_workgroup_size: 216
    .name:           fft_rtc_fwd_len2592_factors_6_6_6_6_2_wgs_216_tpt_216_halfLds_dp_op_CI_CI_unitstride_sbrr_R2C_dirReg
    .private_segment_fixed_size: 0
    .sgpr_count:     34
    .sgpr_spill_count: 0
    .symbol:         fft_rtc_fwd_len2592_factors_6_6_6_6_2_wgs_216_tpt_216_halfLds_dp_op_CI_CI_unitstride_sbrr_R2C_dirReg.kd
    .uniform_work_group_size: 1
    .uses_dynamic_stack: false
    .vgpr_count:     103
    .vgpr_spill_count: 0
    .wavefront_size: 64
amdhsa.target:   amdgcn-amd-amdhsa--gfx950
amdhsa.version:
  - 1
  - 2
...

	.end_amdgpu_metadata
